;; amdgpu-corpus repo=ROCm/rocFFT kind=compiled arch=gfx906 opt=O3
	.text
	.amdgcn_target "amdgcn-amd-amdhsa--gfx906"
	.amdhsa_code_object_version 6
	.protected	fft_rtc_fwd_len3072_factors_6_4_4_4_4_2_wgs_256_tpt_256_halfLds_sp_op_CI_CI_sbrr_dirReg ; -- Begin function fft_rtc_fwd_len3072_factors_6_4_4_4_4_2_wgs_256_tpt_256_halfLds_sp_op_CI_CI_sbrr_dirReg
	.globl	fft_rtc_fwd_len3072_factors_6_4_4_4_4_2_wgs_256_tpt_256_halfLds_sp_op_CI_CI_sbrr_dirReg
	.p2align	8
	.type	fft_rtc_fwd_len3072_factors_6_4_4_4_4_2_wgs_256_tpt_256_halfLds_sp_op_CI_CI_sbrr_dirReg,@function
fft_rtc_fwd_len3072_factors_6_4_4_4_4_2_wgs_256_tpt_256_halfLds_sp_op_CI_CI_sbrr_dirReg: ; @fft_rtc_fwd_len3072_factors_6_4_4_4_4_2_wgs_256_tpt_256_halfLds_sp_op_CI_CI_sbrr_dirReg
; %bb.0:
	s_load_dwordx4 s[16:19], s[4:5], 0x18
	s_load_dwordx4 s[12:15], s[4:5], 0x0
	;; [unrolled: 1-line block ×3, first 2 shown]
	v_mov_b32_e32 v6, 0
	v_mov_b32_e32 v13, 0
	s_waitcnt lgkmcnt(0)
	s_load_dwordx2 s[20:21], s[16:17], 0x0
	s_load_dwordx2 s[2:3], s[18:19], 0x0
	v_cmp_lt_u64_e64 s[0:1], s[14:15], 2
	v_mov_b32_e32 v8, s6
	v_mov_b32_e32 v9, v6
	s_and_b64 vcc, exec, s[0:1]
	v_mov_b32_e32 v14, 0
	s_cbranch_vccnz .LBB0_8
; %bb.1:
	s_load_dwordx2 s[0:1], s[4:5], 0x10
	s_add_u32 s6, s18, 8
	s_addc_u32 s7, s19, 0
	s_add_u32 s22, s16, 8
	s_addc_u32 s23, s17, 0
	v_mov_b32_e32 v13, 0
	s_waitcnt lgkmcnt(0)
	s_add_u32 s24, s0, 8
	v_mov_b32_e32 v14, 0
	v_mov_b32_e32 v2, v13
	s_addc_u32 s25, s1, 0
	s_mov_b64 s[26:27], 1
	v_mov_b32_e32 v3, v14
.LBB0_2:                                ; =>This Inner Loop Header: Depth=1
	s_load_dwordx2 s[28:29], s[24:25], 0x0
                                        ; implicit-def: $vgpr4_vgpr5
	s_waitcnt lgkmcnt(0)
	v_or_b32_e32 v7, s29, v9
	v_cmp_ne_u64_e32 vcc, 0, v[6:7]
	s_and_saveexec_b64 s[0:1], vcc
	s_xor_b64 s[30:31], exec, s[0:1]
	s_cbranch_execz .LBB0_4
; %bb.3:                                ;   in Loop: Header=BB0_2 Depth=1
	v_cvt_f32_u32_e32 v1, s28
	v_cvt_f32_u32_e32 v4, s29
	s_sub_u32 s0, 0, s28
	s_subb_u32 s1, 0, s29
	v_mac_f32_e32 v1, 0x4f800000, v4
	v_rcp_f32_e32 v1, v1
	v_mul_f32_e32 v1, 0x5f7ffffc, v1
	v_mul_f32_e32 v4, 0x2f800000, v1
	v_trunc_f32_e32 v4, v4
	v_mac_f32_e32 v1, 0xcf800000, v4
	v_cvt_u32_f32_e32 v4, v4
	v_cvt_u32_f32_e32 v1, v1
	v_mul_lo_u32 v5, s0, v4
	v_mul_hi_u32 v7, s0, v1
	v_mul_lo_u32 v11, s1, v1
	v_mul_lo_u32 v10, s0, v1
	v_add_u32_e32 v5, v7, v5
	v_add_u32_e32 v5, v5, v11
	v_mul_hi_u32 v7, v1, v10
	v_mul_lo_u32 v11, v1, v5
	v_mul_hi_u32 v15, v1, v5
	v_mul_hi_u32 v12, v4, v10
	v_mul_lo_u32 v10, v4, v10
	v_mul_hi_u32 v16, v4, v5
	v_add_co_u32_e32 v7, vcc, v7, v11
	v_addc_co_u32_e32 v11, vcc, 0, v15, vcc
	v_mul_lo_u32 v5, v4, v5
	v_add_co_u32_e32 v7, vcc, v7, v10
	v_addc_co_u32_e32 v7, vcc, v11, v12, vcc
	v_addc_co_u32_e32 v10, vcc, 0, v16, vcc
	v_add_co_u32_e32 v5, vcc, v7, v5
	v_addc_co_u32_e32 v7, vcc, 0, v10, vcc
	v_add_co_u32_e32 v1, vcc, v1, v5
	v_addc_co_u32_e32 v4, vcc, v4, v7, vcc
	v_mul_lo_u32 v5, s0, v4
	v_mul_hi_u32 v7, s0, v1
	v_mul_lo_u32 v10, s1, v1
	v_mul_lo_u32 v11, s0, v1
	v_add_u32_e32 v5, v7, v5
	v_add_u32_e32 v5, v5, v10
	v_mul_lo_u32 v12, v1, v5
	v_mul_hi_u32 v15, v1, v11
	v_mul_hi_u32 v16, v1, v5
	;; [unrolled: 1-line block ×3, first 2 shown]
	v_mul_lo_u32 v11, v4, v11
	v_mul_hi_u32 v7, v4, v5
	v_add_co_u32_e32 v12, vcc, v15, v12
	v_addc_co_u32_e32 v15, vcc, 0, v16, vcc
	v_mul_lo_u32 v5, v4, v5
	v_add_co_u32_e32 v11, vcc, v12, v11
	v_addc_co_u32_e32 v10, vcc, v15, v10, vcc
	v_addc_co_u32_e32 v7, vcc, 0, v7, vcc
	v_add_co_u32_e32 v5, vcc, v10, v5
	v_addc_co_u32_e32 v7, vcc, 0, v7, vcc
	v_add_co_u32_e32 v1, vcc, v1, v5
	v_addc_co_u32_e32 v7, vcc, v4, v7, vcc
	v_mad_u64_u32 v[4:5], s[0:1], v8, v7, 0
	v_mul_hi_u32 v10, v8, v1
	v_add_co_u32_e32 v12, vcc, v10, v4
	v_addc_co_u32_e32 v15, vcc, 0, v5, vcc
	v_mad_u64_u32 v[4:5], s[0:1], v9, v1, 0
	v_mad_u64_u32 v[10:11], s[0:1], v9, v7, 0
	v_add_co_u32_e32 v1, vcc, v12, v4
	v_addc_co_u32_e32 v1, vcc, v15, v5, vcc
	v_addc_co_u32_e32 v4, vcc, 0, v11, vcc
	v_add_co_u32_e32 v1, vcc, v1, v10
	v_addc_co_u32_e32 v7, vcc, 0, v4, vcc
	v_mul_lo_u32 v10, s29, v1
	v_mul_lo_u32 v11, s28, v7
	v_mad_u64_u32 v[4:5], s[0:1], s28, v1, 0
	v_add3_u32 v5, v5, v11, v10
	v_sub_u32_e32 v10, v9, v5
	v_mov_b32_e32 v11, s29
	v_sub_co_u32_e32 v4, vcc, v8, v4
	v_subb_co_u32_e64 v10, s[0:1], v10, v11, vcc
	v_subrev_co_u32_e64 v11, s[0:1], s28, v4
	v_subbrev_co_u32_e64 v10, s[0:1], 0, v10, s[0:1]
	v_cmp_le_u32_e64 s[0:1], s29, v10
	v_cndmask_b32_e64 v12, 0, -1, s[0:1]
	v_cmp_le_u32_e64 s[0:1], s28, v11
	v_cndmask_b32_e64 v11, 0, -1, s[0:1]
	v_cmp_eq_u32_e64 s[0:1], s29, v10
	v_cndmask_b32_e64 v10, v12, v11, s[0:1]
	v_add_co_u32_e64 v11, s[0:1], 2, v1
	v_addc_co_u32_e64 v12, s[0:1], 0, v7, s[0:1]
	v_add_co_u32_e64 v15, s[0:1], 1, v1
	v_addc_co_u32_e64 v16, s[0:1], 0, v7, s[0:1]
	v_subb_co_u32_e32 v5, vcc, v9, v5, vcc
	v_cmp_ne_u32_e64 s[0:1], 0, v10
	v_cmp_le_u32_e32 vcc, s29, v5
	v_cndmask_b32_e64 v10, v16, v12, s[0:1]
	v_cndmask_b32_e64 v12, 0, -1, vcc
	v_cmp_le_u32_e32 vcc, s28, v4
	v_cndmask_b32_e64 v4, 0, -1, vcc
	v_cmp_eq_u32_e32 vcc, s29, v5
	v_cndmask_b32_e32 v4, v12, v4, vcc
	v_cmp_ne_u32_e32 vcc, 0, v4
	v_cndmask_b32_e64 v4, v15, v11, s[0:1]
	v_cndmask_b32_e32 v5, v7, v10, vcc
	v_cndmask_b32_e32 v4, v1, v4, vcc
.LBB0_4:                                ;   in Loop: Header=BB0_2 Depth=1
	s_andn2_saveexec_b64 s[0:1], s[30:31]
	s_cbranch_execz .LBB0_6
; %bb.5:                                ;   in Loop: Header=BB0_2 Depth=1
	v_cvt_f32_u32_e32 v1, s28
	s_sub_i32 s30, 0, s28
	v_rcp_iflag_f32_e32 v1, v1
	v_mul_f32_e32 v1, 0x4f7ffffe, v1
	v_cvt_u32_f32_e32 v1, v1
	v_mul_lo_u32 v4, s30, v1
	v_mul_hi_u32 v4, v1, v4
	v_add_u32_e32 v1, v1, v4
	v_mul_hi_u32 v1, v8, v1
	v_mul_lo_u32 v4, v1, s28
	v_add_u32_e32 v5, 1, v1
	v_sub_u32_e32 v4, v8, v4
	v_subrev_u32_e32 v7, s28, v4
	v_cmp_le_u32_e32 vcc, s28, v4
	v_cndmask_b32_e32 v4, v4, v7, vcc
	v_cndmask_b32_e32 v1, v1, v5, vcc
	v_add_u32_e32 v5, 1, v1
	v_cmp_le_u32_e32 vcc, s28, v4
	v_cndmask_b32_e32 v4, v1, v5, vcc
	v_mov_b32_e32 v5, v6
.LBB0_6:                                ;   in Loop: Header=BB0_2 Depth=1
	s_or_b64 exec, exec, s[0:1]
	v_mul_lo_u32 v1, v5, s28
	v_mul_lo_u32 v7, v4, s29
	v_mad_u64_u32 v[10:11], s[0:1], v4, s28, 0
	s_load_dwordx2 s[0:1], s[22:23], 0x0
	s_load_dwordx2 s[28:29], s[6:7], 0x0
	v_add3_u32 v1, v11, v7, v1
	v_sub_co_u32_e32 v7, vcc, v8, v10
	v_subb_co_u32_e32 v1, vcc, v9, v1, vcc
	s_waitcnt lgkmcnt(0)
	v_mul_lo_u32 v8, s0, v1
	v_mul_lo_u32 v9, s1, v7
	v_mad_u64_u32 v[13:14], s[0:1], s0, v7, v[13:14]
	s_add_u32 s26, s26, 1
	s_addc_u32 s27, s27, 0
	s_add_u32 s6, s6, 8
	v_mul_lo_u32 v1, s28, v1
	v_mul_lo_u32 v10, s29, v7
	v_mad_u64_u32 v[2:3], s[0:1], s28, v7, v[2:3]
	v_add3_u32 v14, v9, v14, v8
	s_addc_u32 s7, s7, 0
	v_mov_b32_e32 v7, s14
	s_add_u32 s22, s22, 8
	v_mov_b32_e32 v8, s15
	s_addc_u32 s23, s23, 0
	v_cmp_ge_u64_e32 vcc, s[26:27], v[7:8]
	s_add_u32 s24, s24, 8
	v_add3_u32 v3, v10, v3, v1
	s_addc_u32 s25, s25, 0
	s_cbranch_vccnz .LBB0_9
; %bb.7:                                ;   in Loop: Header=BB0_2 Depth=1
	v_mov_b32_e32 v9, v5
	v_mov_b32_e32 v8, v4
	s_branch .LBB0_2
.LBB0_8:
	v_mov_b32_e32 v2, v13
	v_mov_b32_e32 v4, v8
	;; [unrolled: 1-line block ×4, first 2 shown]
.LBB0_9:
	s_load_dwordx2 s[0:1], s[4:5], 0x28
	s_lshl_b64 s[14:15], s[14:15], 3
	s_add_u32 s4, s18, s14
	s_addc_u32 s5, s19, s15
                                        ; implicit-def: $vgpr8
                                        ; implicit-def: $vgpr11
                                        ; implicit-def: $vgpr6
                                        ; implicit-def: $vgpr9
                                        ; implicit-def: $vgpr12
	s_waitcnt lgkmcnt(0)
	v_cmp_gt_u64_e32 vcc, s[0:1], v[4:5]
	v_cmp_le_u64_e64 s[0:1], s[0:1], v[4:5]
	s_and_saveexec_b64 s[6:7], s[0:1]
	s_xor_b64 s[0:1], exec, s[6:7]
; %bb.10:
	v_or_b32_e32 v8, 0x100, v0
	v_or_b32_e32 v11, 0x300, v0
	;; [unrolled: 1-line block ×5, first 2 shown]
                                        ; implicit-def: $vgpr13_vgpr14
; %bb.11:
	s_or_saveexec_b64 s[6:7], s[0:1]
                                        ; implicit-def: $vgpr17
                                        ; implicit-def: $vgpr27
                                        ; implicit-def: $vgpr29
                                        ; implicit-def: $vgpr31
                                        ; implicit-def: $vgpr33
                                        ; implicit-def: $vgpr15
                                        ; implicit-def: $vgpr21
                                        ; implicit-def: $vgpr35
                                        ; implicit-def: $vgpr23
                                        ; implicit-def: $vgpr25
                                        ; implicit-def: $vgpr19
                                        ; implicit-def: $vgpr37
	s_xor_b64 exec, exec, s[6:7]
	s_cbranch_execz .LBB0_13
; %bb.12:
	s_add_u32 s0, s16, s14
	s_addc_u32 s1, s17, s15
	s_load_dwordx2 s[0:1], s[0:1], 0x0
	v_mad_u64_u32 v[7:8], s[14:15], s20, v0, 0
	v_mov_b32_e32 v1, v8
	s_waitcnt lgkmcnt(0)
	v_mul_lo_u32 v6, s1, v4
	v_mul_lo_u32 v15, s0, v5
	v_mad_u64_u32 v[9:10], s[0:1], s0, v4, 0
	v_mad_u64_u32 v[11:12], s[0:1], s21, v0, v[1:2]
	v_add3_u32 v10, v10, v15, v6
	v_lshlrev_b64 v[9:10], 3, v[9:10]
	v_mov_b32_e32 v1, s9
	v_add_co_u32_e64 v15, s[0:1], s8, v9
	v_or_b32_e32 v6, 0x200, v0
	v_mov_b32_e32 v8, v11
	v_addc_co_u32_e64 v1, s[0:1], v1, v10, s[0:1]
	v_mad_u64_u32 v[11:12], s[0:1], s20, v6, 0
	v_lshlrev_b64 v[9:10], 3, v[13:14]
	v_lshlrev_b64 v[7:8], 3, v[7:8]
	v_add_co_u32_e64 v21, s[0:1], v15, v9
	v_addc_co_u32_e64 v22, s[0:1], v1, v10, s[0:1]
	v_mov_b32_e32 v1, v12
	v_mad_u64_u32 v[12:13], s[0:1], s21, v6, v[1:2]
	v_or_b32_e32 v9, 0x400, v0
	v_mad_u64_u32 v[13:14], s[0:1], s20, v9, 0
	v_add_co_u32_e64 v38, s[0:1], v21, v7
	v_mov_b32_e32 v1, v14
	v_addc_co_u32_e64 v39, s[0:1], v22, v8, s[0:1]
	v_lshlrev_b64 v[7:8], 3, v[11:12]
	v_mad_u64_u32 v[10:11], s[0:1], s21, v9, v[1:2]
	v_or_b32_e32 v15, 0x600, v0
	v_mad_u64_u32 v[11:12], s[0:1], s20, v15, 0
	v_add_co_u32_e64 v40, s[0:1], v21, v7
	v_mov_b32_e32 v14, v10
	v_mov_b32_e32 v1, v12
	v_addc_co_u32_e64 v41, s[0:1], v22, v8, s[0:1]
	v_lshlrev_b64 v[7:8], 3, v[13:14]
	v_mad_u64_u32 v[12:13], s[0:1], s21, v15, v[1:2]
	v_or_b32_e32 v10, 0x800, v0
	v_mad_u64_u32 v[13:14], s[0:1], s20, v10, 0
	v_add_co_u32_e64 v42, s[0:1], v21, v7
	v_mov_b32_e32 v1, v14
	v_addc_co_u32_e64 v43, s[0:1], v22, v8, s[0:1]
	v_lshlrev_b64 v[7:8], 3, v[11:12]
	v_mad_u64_u32 v[10:11], s[0:1], s21, v10, v[1:2]
	v_or_b32_e32 v15, 0xa00, v0
	v_mad_u64_u32 v[11:12], s[0:1], s20, v15, 0
	v_add_co_u32_e64 v44, s[0:1], v21, v7
	v_mov_b32_e32 v1, v12
	v_addc_co_u32_e64 v45, s[0:1], v22, v8, s[0:1]
	v_mad_u64_u32 v[7:8], s[0:1], s21, v15, v[1:2]
	v_or_b32_e32 v8, 0x100, v0
	v_mad_u64_u32 v[15:16], s[0:1], s20, v8, 0
	v_mov_b32_e32 v14, v10
	v_lshlrev_b64 v[13:14], 3, v[13:14]
	v_mov_b32_e32 v12, v7
	v_add_co_u32_e64 v46, s[0:1], v21, v13
	v_mov_b32_e32 v1, v16
	v_addc_co_u32_e64 v47, s[0:1], v22, v14, s[0:1]
	v_lshlrev_b64 v[12:13], 3, v[11:12]
	v_mad_u64_u32 v[10:11], s[0:1], s21, v8, v[1:2]
	v_or_b32_e32 v11, 0x300, v0
	v_mad_u64_u32 v[17:18], s[0:1], s20, v11, 0
	v_add_co_u32_e64 v48, s[0:1], v21, v12
	v_or_b32_e32 v12, 0x500, v0
	v_addc_co_u32_e64 v49, s[0:1], v22, v13, s[0:1]
	v_mov_b32_e32 v16, v10
	v_mov_b32_e32 v1, v18
	v_mad_u64_u32 v[19:20], s[0:1], s20, v12, 0
	v_lshlrev_b64 v[13:14], 3, v[15:16]
	v_mad_u64_u32 v[15:16], s[0:1], s21, v11, v[1:2]
	v_add_co_u32_e64 v50, s[0:1], v21, v13
	v_mov_b32_e32 v1, v20
	v_addc_co_u32_e64 v51, s[0:1], v22, v14, s[0:1]
	v_mov_b32_e32 v18, v15
	v_mad_u64_u32 v[15:16], s[0:1], s21, v12, v[1:2]
	v_or_b32_e32 v7, 0x700, v0
	v_lshlrev_b64 v[13:14], 3, v[17:18]
	v_mad_u64_u32 v[16:17], s[0:1], s20, v7, 0
	v_add_co_u32_e64 v52, s[0:1], v21, v13
	v_mov_b32_e32 v1, v17
	v_addc_co_u32_e64 v53, s[0:1], v22, v14, s[0:1]
	v_mov_b32_e32 v20, v15
	v_mad_u64_u32 v[17:18], s[0:1], s21, v7, v[1:2]
	v_or_b32_e32 v7, 0x900, v0
	v_lshlrev_b64 v[13:14], 3, v[19:20]
	v_mad_u64_u32 v[18:19], s[0:1], s20, v7, 0
	v_add_co_u32_e64 v54, s[0:1], v21, v13
	v_mov_b32_e32 v1, v19
	v_addc_co_u32_e64 v55, s[0:1], v22, v14, s[0:1]
	v_lshlrev_b64 v[13:14], 3, v[16:17]
	v_mad_u64_u32 v[15:16], s[0:1], s21, v7, v[1:2]
	v_or_b32_e32 v7, 0xb00, v0
	v_mad_u64_u32 v[16:17], s[0:1], s20, v7, 0
	v_add_co_u32_e64 v56, s[0:1], v21, v13
	v_mov_b32_e32 v19, v15
	v_mov_b32_e32 v1, v17
	v_addc_co_u32_e64 v57, s[0:1], v22, v14, s[0:1]
	v_lshlrev_b64 v[13:14], 3, v[18:19]
	v_mad_u64_u32 v[17:18], s[0:1], s21, v7, v[1:2]
	v_add_co_u32_e64 v58, s[0:1], v21, v13
	v_addc_co_u32_e64 v59, s[0:1], v22, v14, s[0:1]
	v_lshlrev_b64 v[13:14], 3, v[16:17]
	v_add_co_u32_e64 v60, s[0:1], v21, v13
	v_addc_co_u32_e64 v61, s[0:1], v22, v14, s[0:1]
	global_load_dwordx2 v[16:17], v[38:39], off
	global_load_dwordx2 v[26:27], v[40:41], off
	;; [unrolled: 1-line block ×12, first 2 shown]
.LBB0_13:
	s_or_b64 exec, exec, s[6:7]
	s_waitcnt vmcnt(7)
	v_add_f32_e32 v7, v28, v30
	v_add_f32_e32 v1, v16, v28
	v_fmac_f32_e32 v16, -0.5, v7
	v_sub_f32_e32 v7, v29, v31
	v_mov_b32_e32 v10, v16
	s_waitcnt vmcnt(6)
	v_add_f32_e32 v13, v32, v36
	v_fmac_f32_e32 v10, 0x3f5db3d7, v7
	v_fmac_f32_e32 v16, 0xbf5db3d7, v7
	v_add_f32_e32 v7, v26, v36
	v_fmac_f32_e32 v26, -0.5, v13
	v_sub_f32_e32 v13, v37, v33
	v_mov_b32_e32 v40, v26
	v_fmac_f32_e32 v40, 0x3f5db3d7, v13
	v_fmac_f32_e32 v26, 0xbf5db3d7, v13
	v_add_f32_e32 v13, v27, v37
	v_add_f32_e32 v37, v33, v37
	v_fmac_f32_e32 v27, -0.5, v37
	v_sub_f32_e32 v36, v36, v32
	v_mov_b32_e32 v41, v27
	v_fmac_f32_e32 v41, 0xbf5db3d7, v36
	v_fmac_f32_e32 v27, 0x3f5db3d7, v36
	v_add_f32_e32 v1, v1, v30
	v_add_f32_e32 v7, v32, v7
	v_mul_f32_e32 v32, 0.5, v40
	v_mul_f32_e32 v42, -0.5, v26
	v_fmac_f32_e32 v32, 0x3f5db3d7, v41
	v_add_f32_e32 v36, v1, v7
	v_fmac_f32_e32 v42, 0x3f5db3d7, v27
	v_sub_f32_e32 v39, v1, v7
	v_mul_u32_u24_e32 v1, 6, v0
	v_add_f32_e32 v37, v10, v32
	v_add_f32_e32 v38, v16, v42
	v_lshl_add_u32 v7, v1, 2, 0
	ds_write2_b64 v7, v[36:37], v[38:39] offset1:1
	v_sub_f32_e32 v36, v10, v32
	s_waitcnt vmcnt(1)
	v_add_f32_e32 v10, v20, v22
	v_add_f32_e32 v1, v14, v20
	v_fmac_f32_e32 v14, -0.5, v10
	v_sub_f32_e32 v37, v16, v42
	v_sub_f32_e32 v10, v21, v23
	v_mov_b32_e32 v16, v14
	s_waitcnt vmcnt(0)
	v_add_f32_e32 v32, v34, v24
	v_fmac_f32_e32 v16, 0x3f5db3d7, v10
	v_fmac_f32_e32 v14, 0xbf5db3d7, v10
	v_add_f32_e32 v10, v34, v18
	v_fmac_f32_e32 v18, -0.5, v32
	v_sub_f32_e32 v32, v35, v25
	v_mov_b32_e32 v39, v18
	v_fmac_f32_e32 v39, 0x3f5db3d7, v32
	v_fmac_f32_e32 v18, 0xbf5db3d7, v32
	v_add_f32_e32 v32, v35, v25
	v_add_f32_e32 v42, v35, v19
	v_fmac_f32_e32 v19, -0.5, v32
	v_add_f32_e32 v1, v1, v22
	v_add_f32_e32 v10, v24, v10
	ds_write_b64 v7, v[36:37] offset:16
	v_sub_f32_e32 v32, v34, v24
	v_mov_b32_e32 v43, v19
	v_add_f32_e32 v34, v1, v10
	v_sub_f32_e32 v37, v1, v10
	v_mul_i32_i24_e32 v1, 6, v8
	v_add_f32_e32 v10, v29, v31
	v_fmac_f32_e32 v43, 0xbf5db3d7, v32
	v_fmac_f32_e32 v19, 0x3f5db3d7, v32
	v_mul_f32_e32 v32, 0.5, v39
	v_mul_f32_e32 v38, -0.5, v18
	v_lshl_add_u32 v24, v1, 2, 0
	v_add_f32_e32 v1, v17, v29
	v_fmac_f32_e32 v17, -0.5, v10
	v_fmac_f32_e32 v32, 0x3f5db3d7, v43
	v_fmac_f32_e32 v38, 0x3f5db3d7, v19
	v_sub_f32_e32 v28, v28, v30
	v_mul_f32_e32 v44, -0.5, v27
	v_mov_b32_e32 v10, v17
	v_mul_f32_e32 v40, 0xbf5db3d7, v40
	v_add_f32_e32 v36, v14, v38
	v_add_f32_e32 v1, v1, v31
	;; [unrolled: 1-line block ×3, first 2 shown]
	v_fmac_f32_e32 v44, 0xbf5db3d7, v26
	v_fmac_f32_e32 v10, 0xbf5db3d7, v28
	;; [unrolled: 1-line block ×3, first 2 shown]
	v_fmac_f32_e32 v40, 0.5, v41
	v_sub_f32_e32 v13, v16, v32
	v_sub_f32_e32 v14, v14, v38
	s_movk_i32 s0, 0xffec
	v_add_f32_e32 v35, v16, v32
	ds_write_b64 v24, v[13:14] offset:16
	v_add_f32_e32 v13, v1, v29
	v_add_f32_e32 v14, v10, v40
	v_sub_f32_e32 v30, v1, v29
	v_add_f32_e32 v29, v17, v44
	v_mad_i32_i24 v1, v8, s0, v24
	ds_write2_b64 v24, v[34:35], v[36:37] offset1:1
	s_load_dwordx2 s[4:5], s[4:5], 0x0
	s_waitcnt lgkmcnt(0)
	s_barrier
	v_mad_i32_i24 v26, v0, s0, v7
	v_lshl_add_u32 v27, v11, 2, 0
	v_lshl_add_u32 v28, v6, 2, 0
	ds_read_b32 v45, v1
	ds_read_b32 v46, v28
	;; [unrolled: 1-line block ×3, first 2 shown]
	ds_read_b32 v47, v26 offset:11264
	ds_read2st64_b32 v[31:32], v26 offset1:16
	ds_read2st64_b32 v[33:34], v26 offset0:20 offset1:24
	ds_read2st64_b32 v[35:36], v26 offset0:36 offset1:40
	;; [unrolled: 1-line block ×3, first 2 shown]
	s_waitcnt lgkmcnt(0)
	s_barrier
	ds_write2_b64 v7, v[13:14], v[29:30] offset1:1
	v_sub_f32_e32 v14, v17, v44
	v_sub_f32_e32 v13, v10, v40
	v_add_f32_e32 v10, v21, v23
	ds_write_b64 v7, v[13:14] offset:16
	v_add_f32_e32 v7, v15, v21
	v_sub_f32_e32 v13, v20, v22
	v_mul_f32_e32 v14, -0.5, v19
	v_fmac_f32_e32 v15, -0.5, v10
	v_add_f32_e32 v7, v7, v23
	v_add_f32_e32 v17, v25, v42
	v_fmac_f32_e32 v14, 0xbf5db3d7, v18
	v_mov_b32_e32 v10, v15
	v_fmac_f32_e32 v15, 0x3f5db3d7, v13
	v_fmac_f32_e32 v10, 0xbf5db3d7, v13
	v_mul_f32_e32 v19, 0xbf5db3d7, v39
	v_add_f32_e32 v13, v15, v14
	v_sub_f32_e32 v16, v15, v14
	v_sub_f32_e32 v14, v7, v17
	v_add_f32_e32 v17, v7, v17
	v_mul_lo_u16_e32 v7, 0xab, v0
	v_fmac_f32_e32 v19, 0.5, v43
	v_lshrrev_b16_e32 v25, 10, v7
	v_add_f32_e32 v18, v10, v19
	v_sub_f32_e32 v15, v10, v19
	v_mul_lo_u16_e32 v10, 6, v25
	v_sub_u16_e32 v43, v0, v10
	v_mov_b32_e32 v10, 3
	ds_write2_b64 v24, v[17:18], v[13:14] offset1:1
	ds_write_b64 v24, v[15:16] offset:16
	v_mul_u32_u24_sdwa v13, v43, v10 dst_sel:DWORD dst_unused:UNUSED_PAD src0_sel:BYTE_0 src1_sel:DWORD
	s_mov_b32 s0, 0xaaab
	v_lshlrev_b32_e32 v29, 3, v13
	v_mul_u32_u24_sdwa v13, v6, s0 dst_sel:DWORD dst_unused:UNUSED_PAD src0_sel:WORD_0 src1_sel:DWORD
	s_waitcnt lgkmcnt(0)
	s_barrier
	global_load_dwordx4 v[14:17], v29, s[12:13]
	v_lshrrev_b32_e32 v44, 18, v13
	v_mul_lo_u16_e32 v18, 6, v44
	v_sub_u16_e32 v48, v6, v18
	v_mul_lo_u16_e32 v18, 3, v48
	v_lshlrev_b32_e32 v42, 3, v18
	global_load_dwordx4 v[18:21], v42, s[12:13]
	ds_read_b32 v39, v27
	ds_read2st64_b32 v[22:23], v26 offset0:20 offset1:24
	global_load_dwordx2 v[29:30], v29, s[12:13] offset:16
	ds_read_b32 v49, v28
	ds_read_b32 v50, v1
	ds_read_b32 v51, v26 offset:11264
	v_mul_u32_u24_e32 v25, 24, v25
	v_or_b32_sdwa v25, v25, v43 dst_sel:DWORD dst_unused:UNUSED_PAD src0_sel:DWORD src1_sel:BYTE_0
	v_lshl_add_u32 v25, v25, 2, 0
	s_movk_i32 s6, 0x1000
	s_waitcnt vmcnt(2) lgkmcnt(4)
	v_mul_f32_e32 v40, v39, v15
	v_mul_f32_e32 v53, v41, v15
	v_fma_f32 v52, v41, v14, -v40
	v_fmac_f32_e32 v53, v39, v14
	ds_read2st64_b32 v[39:40], v26 offset0:28 offset1:32
	s_waitcnt lgkmcnt(4)
	v_mul_f32_e32 v14, v23, v17
	v_fma_f32 v54, v34, v16, -v14
	v_mul_f32_e32 v34, v34, v17
	s_waitcnt vmcnt(1)
	v_mul_f32_e32 v14, v22, v19
	v_fmac_f32_e32 v34, v23, v16
	v_fma_f32 v23, v33, v18, -v14
	v_mul_f32_e32 v55, v33, v19
	s_waitcnt lgkmcnt(0)
	v_mul_f32_e32 v14, v40, v21
	v_fmac_f32_e32 v55, v22, v18
	v_fma_f32 v22, v38, v20, -v14
	v_mul_u32_u24_sdwa v14, v8, s0 dst_sel:DWORD dst_unused:UNUSED_PAD src0_sel:WORD_0 src1_sel:DWORD
	v_lshrrev_b32_e32 v33, 18, v14
	v_mul_lo_u16_e32 v15, 6, v33
	v_mul_f32_e32 v21, v38, v21
	v_sub_u16_e32 v38, v8, v15
	v_mul_lo_u16_e32 v15, 3, v38
	v_fmac_f32_e32 v21, v40, v20
	v_lshlrev_b32_e32 v40, 3, v15
	global_load_dwordx2 v[41:42], v42, s[12:13] offset:16
	s_nop 0
	global_load_dwordx4 v[15:18], v40, s[12:13]
	global_load_dwordx2 v[19:20], v40, s[12:13] offset:16
	v_sub_f32_e32 v22, v46, v22
	s_waitcnt vmcnt(1)
	v_mul_f32_e32 v40, v39, v18
	v_fma_f32 v40, v37, v17, -v40
	v_mul_f32_e32 v37, v37, v18
	v_fmac_f32_e32 v37, v39, v17
	ds_read2st64_b32 v[17:18], v26 offset1:16
	v_mul_f32_e32 v56, v32, v16
	s_waitcnt lgkmcnt(0)
	v_mul_f32_e32 v39, v18, v16
	v_fma_f32 v39, v32, v15, -v39
	v_fmac_f32_e32 v56, v18, v15
	ds_read2st64_b32 v[15:16], v26 offset0:36 offset1:40
	s_waitcnt vmcnt(0) lgkmcnt(0)
	s_barrier
	v_mul_f32_e32 v18, v15, v30
	v_fma_f32 v18, v35, v29, -v18
	v_mul_f32_e32 v30, v35, v30
	v_fmac_f32_e32 v30, v15, v29
	v_sub_f32_e32 v29, v31, v54
	v_sub_f32_e32 v18, v52, v18
	v_fma_f32 v31, v31, 2.0, -v29
	v_sub_f32_e32 v30, v53, v30
	v_fma_f32 v32, v52, 2.0, -v18
	v_mul_f32_e32 v15, v16, v20
	v_sub_f32_e32 v32, v31, v32
	v_sub_f32_e32 v35, v29, v30
	v_fma_f32 v15, v36, v19, -v15
	v_mul_f32_e32 v20, v36, v20
	v_fma_f32 v31, v31, 2.0, -v32
	v_fma_f32 v29, v29, 2.0, -v35
	v_fmac_f32_e32 v20, v16, v19
	ds_write2_b32 v25, v31, v29 offset1:6
	ds_write2_b32 v25, v32, v35 offset0:12 offset1:18
	v_mul_lo_u16_e32 v29, 24, v33
	v_sub_f32_e32 v31, v45, v40
	v_sub_f32_e32 v15, v39, v15
	v_mul_f32_e32 v16, v51, v42
	v_or_b32_e32 v29, v29, v38
	v_fma_f32 v32, v45, 2.0, -v31
	v_sub_f32_e32 v20, v56, v20
	v_fma_f32 v33, v39, 2.0, -v15
	v_fma_f32 v16, v47, v41, -v16
	v_mul_f32_e32 v19, v47, v42
	v_sub_f32_e32 v33, v32, v33
	v_sub_f32_e32 v35, v31, v20
	v_and_b32_e32 v29, 0xffff, v29
	v_fmac_f32_e32 v19, v51, v41
	v_fma_f32 v32, v32, 2.0, -v33
	v_fma_f32 v31, v31, 2.0, -v35
	v_lshl_add_u32 v38, v29, 2, 0
	v_mul_lo_u16_e32 v29, 24, v44
	v_sub_f32_e32 v16, v23, v16
	ds_write2_b32 v38, v32, v31 offset1:6
	ds_write2_b32 v38, v33, v35 offset0:12 offset1:18
	v_or_b32_e32 v29, v29, v48
	v_fma_f32 v31, v46, 2.0, -v22
	v_sub_f32_e32 v19, v55, v19
	v_fma_f32 v23, v23, 2.0, -v16
	v_sub_f32_e32 v23, v31, v23
	v_sub_f32_e32 v32, v22, v19
	v_and_b32_e32 v29, 0xffff, v29
	v_fma_f32 v31, v31, 2.0, -v23
	v_fma_f32 v22, v22, 2.0, -v32
	v_lshl_add_u32 v39, v29, 2, 0
	ds_write2_b32 v39, v31, v22 offset1:6
	ds_write2_b32 v39, v23, v32 offset0:12 offset1:18
	v_sub_f32_e32 v22, v17, v34
	v_fma_f32 v17, v17, 2.0, -v22
	v_fma_f32 v23, v53, 2.0, -v30
	v_sub_f32_e32 v23, v17, v23
	v_add_f32_e32 v18, v22, v18
	v_fma_f32 v17, v17, 2.0, -v23
	v_fma_f32 v22, v22, 2.0, -v18
	s_waitcnt lgkmcnt(0)
	s_barrier
	ds_read_b32 v45, v1
	ds_read_b32 v46, v28
	;; [unrolled: 1-line block ×3, first 2 shown]
	ds_read_b32 v47, v26 offset:11264
	ds_read2st64_b32 v[29:30], v26 offset1:16
	ds_read2st64_b32 v[31:32], v26 offset0:20 offset1:24
	ds_read2st64_b32 v[33:34], v26 offset0:36 offset1:40
	;; [unrolled: 1-line block ×3, first 2 shown]
	s_waitcnt lgkmcnt(0)
	s_barrier
	ds_write2_b32 v25, v17, v22 offset1:6
	ds_write2_b32 v25, v23, v18 offset0:12 offset1:18
	v_sub_f32_e32 v18, v50, v37
	v_fma_f32 v17, v56, 2.0, -v20
	v_fma_f32 v20, v50, 2.0, -v18
	v_sub_f32_e32 v17, v20, v17
	v_add_f32_e32 v15, v18, v15
	v_fma_f32 v20, v20, 2.0, -v17
	v_fma_f32 v18, v18, 2.0, -v15
	ds_write2_b32 v38, v20, v18 offset1:6
	ds_write2_b32 v38, v17, v15 offset0:12 offset1:18
	v_sub_f32_e32 v17, v49, v21
	v_fma_f32 v15, v55, 2.0, -v19
	v_fma_f32 v18, v49, 2.0, -v17
	v_sub_f32_e32 v15, v18, v15
	v_add_f32_e32 v16, v17, v16
	v_fma_f32 v18, v18, 2.0, -v15
	v_fma_f32 v17, v17, 2.0, -v16
	v_lshrrev_b16_e32 v23, 12, v7
	ds_write2_b32 v39, v18, v17 offset1:6
	ds_write2_b32 v39, v15, v16 offset0:12 offset1:18
	v_mul_lo_u16_e32 v15, 24, v23
	v_sub_u16_e32 v25, v0, v15
	v_mul_u32_u24_sdwa v15, v25, v10 dst_sel:DWORD dst_unused:UNUSED_PAD src0_sel:BYTE_0 src1_sel:DWORD
	v_lshlrev_b32_e32 v39, 3, v15
	s_waitcnt lgkmcnt(0)
	s_barrier
	global_load_dwordx4 v[15:18], v39, s[12:13] offset:144
	v_lshrrev_b32_e32 v48, 20, v13
	v_mul_lo_u16_e32 v19, 24, v48
	v_sub_u16_e32 v49, v6, v19
	v_mul_lo_u16_e32 v19, 3, v49
	v_lshlrev_b32_e32 v43, 3, v19
	global_load_dwordx4 v[19:22], v43, s[12:13] offset:144
	ds_read_b32 v42, v27
	ds_read2st64_b32 v[37:38], v26 offset0:20 offset1:24
	global_load_dwordx2 v[39:40], v39, s[12:13] offset:160
	ds_read_b32 v50, v28
	ds_read_b32 v51, v1
	ds_read_b32 v52, v26 offset:11264
	v_mul_u32_u24_e32 v23, 0x60, v23
	v_or_b32_sdwa v23, v23, v25 dst_sel:DWORD dst_unused:UNUSED_PAD src0_sel:DWORD src1_sel:BYTE_0
	v_lshl_add_u32 v23, v23, 2, 0
	v_lshrrev_b16_e32 v7, 14, v7
	s_waitcnt vmcnt(2) lgkmcnt(4)
	v_mul_f32_e32 v44, v42, v16
	v_mul_f32_e32 v54, v41, v16
	v_fma_f32 v53, v41, v15, -v44
	v_fmac_f32_e32 v54, v42, v15
	ds_read2st64_b32 v[41:42], v26 offset0:28 offset1:32
	s_waitcnt lgkmcnt(4)
	v_mul_f32_e32 v15, v38, v18
	v_fma_f32 v55, v32, v17, -v15
	v_mul_f32_e32 v32, v32, v18
	s_waitcnt vmcnt(1)
	v_mul_f32_e32 v15, v37, v20
	v_fmac_f32_e32 v32, v38, v17
	v_fma_f32 v38, v31, v19, -v15
	v_mul_f32_e32 v31, v31, v20
	s_waitcnt lgkmcnt(0)
	v_mul_f32_e32 v15, v42, v22
	v_mul_f32_e32 v22, v36, v22
	v_fmac_f32_e32 v31, v37, v19
	v_fma_f32 v37, v36, v21, -v15
	v_fmac_f32_e32 v22, v42, v21
	v_lshrrev_b32_e32 v21, 20, v14
	v_mul_lo_u16_e32 v15, 24, v21
	v_sub_u16_e32 v36, v8, v15
	v_mul_lo_u16_e32 v15, 3, v36
	v_lshlrev_b32_e32 v42, 3, v15
	global_load_dwordx2 v[43:44], v43, s[12:13] offset:160
	s_nop 0
	global_load_dwordx4 v[15:18], v42, s[12:13] offset:144
	global_load_dwordx2 v[19:20], v42, s[12:13] offset:160
	v_mul_lo_u16_e32 v21, 0x60, v21
	v_or_b32_e32 v21, v21, v36
	v_and_b32_e32 v21, 0xffff, v21
	v_lshl_add_u32 v21, v21, 2, 0
	s_waitcnt vmcnt(1)
	v_mul_f32_e32 v42, v41, v18
	v_mul_f32_e32 v56, v35, v18
	v_fma_f32 v42, v35, v17, -v42
	v_fmac_f32_e32 v56, v41, v17
	ds_read2st64_b32 v[17:18], v26 offset1:16
	s_waitcnt lgkmcnt(0)
	v_mul_f32_e32 v35, v18, v16
	v_fma_f32 v35, v30, v15, -v35
	v_mul_f32_e32 v30, v30, v16
	v_fmac_f32_e32 v30, v18, v15
	ds_read2st64_b32 v[15:16], v26 offset0:36 offset1:40
	s_waitcnt vmcnt(0) lgkmcnt(0)
	s_barrier
	v_sub_f32_e32 v32, v17, v32
	v_mul_f32_e32 v18, v15, v40
	v_fma_f32 v18, v33, v39, -v18
	v_mul_f32_e32 v33, v33, v40
	v_fmac_f32_e32 v33, v15, v39
	v_mul_f32_e32 v15, v16, v20
	v_fma_f32 v15, v34, v19, -v15
	v_mul_f32_e32 v20, v34, v20
	v_sub_f32_e32 v34, v29, v55
	v_sub_f32_e32 v18, v53, v18
	v_fma_f32 v29, v29, 2.0, -v34
	v_sub_f32_e32 v25, v54, v33
	v_fma_f32 v33, v53, 2.0, -v18
	v_sub_f32_e32 v33, v29, v33
	v_sub_f32_e32 v39, v34, v25
	v_fma_f32 v29, v29, 2.0, -v33
	v_fma_f32 v34, v34, 2.0, -v39
	v_fmac_f32_e32 v20, v16, v19
	ds_write2_b32 v23, v29, v34 offset1:24
	ds_write2_b32 v23, v33, v39 offset0:48 offset1:72
	v_sub_f32_e32 v29, v45, v42
	v_sub_f32_e32 v15, v35, v15
	v_fma_f32 v33, v45, 2.0, -v29
	v_sub_f32_e32 v20, v30, v20
	v_fma_f32 v34, v35, 2.0, -v15
	v_mul_f32_e32 v16, v52, v44
	v_sub_f32_e32 v34, v33, v34
	v_sub_f32_e32 v35, v29, v20
	v_fma_f32 v16, v47, v43, -v16
	v_mul_f32_e32 v19, v47, v44
	v_fma_f32 v33, v33, 2.0, -v34
	v_fma_f32 v29, v29, 2.0, -v35
	v_fmac_f32_e32 v19, v52, v43
	ds_write2_b32 v21, v33, v29 offset1:24
	ds_write2_b32 v21, v34, v35 offset0:48 offset1:72
	v_mul_lo_u16_e32 v29, 0x60, v48
	v_sub_f32_e32 v33, v46, v37
	v_sub_f32_e32 v16, v38, v16
	v_or_b32_e32 v29, v29, v49
	v_fma_f32 v34, v46, 2.0, -v33
	v_sub_f32_e32 v19, v31, v19
	v_fma_f32 v35, v38, 2.0, -v16
	v_fma_f32 v17, v17, 2.0, -v32
	;; [unrolled: 1-line block ×3, first 2 shown]
	v_sub_f32_e32 v35, v34, v35
	v_sub_f32_e32 v36, v33, v19
	v_and_b32_e32 v29, 0xffff, v29
	v_sub_f32_e32 v25, v17, v25
	v_add_f32_e32 v18, v32, v18
	v_fma_f32 v34, v34, 2.0, -v35
	v_fma_f32 v33, v33, 2.0, -v36
	v_lshl_add_u32 v29, v29, 2, 0
	v_fma_f32 v17, v17, 2.0, -v25
	v_fma_f32 v32, v32, 2.0, -v18
	ds_write2_b32 v29, v34, v33 offset1:24
	ds_write2_b32 v29, v35, v36 offset0:48 offset1:72
	s_waitcnt lgkmcnt(0)
	s_barrier
	ds_read_b32 v45, v1
	ds_read_b32 v46, v28
	;; [unrolled: 1-line block ×3, first 2 shown]
	ds_read_b32 v47, v26 offset:11264
	ds_read2st64_b32 v[33:34], v26 offset1:16
	ds_read2st64_b32 v[35:36], v26 offset0:20 offset1:24
	ds_read2st64_b32 v[37:38], v26 offset0:36 offset1:40
	;; [unrolled: 1-line block ×3, first 2 shown]
	s_waitcnt lgkmcnt(0)
	s_barrier
	ds_write2_b32 v23, v17, v32 offset1:24
	ds_write2_b32 v23, v25, v18 offset0:48 offset1:72
	v_sub_f32_e32 v18, v51, v56
	v_fma_f32 v17, v30, 2.0, -v20
	v_fma_f32 v20, v51, 2.0, -v18
	v_sub_f32_e32 v17, v20, v17
	v_add_f32_e32 v15, v18, v15
	v_fma_f32 v20, v20, 2.0, -v17
	v_fma_f32 v18, v18, 2.0, -v15
	ds_write2_b32 v21, v20, v18 offset1:24
	ds_write2_b32 v21, v17, v15 offset0:48 offset1:72
	v_sub_f32_e32 v17, v50, v22
	v_fma_f32 v15, v31, 2.0, -v19
	v_fma_f32 v18, v50, 2.0, -v17
	v_sub_f32_e32 v15, v18, v15
	v_add_f32_e32 v16, v17, v16
	v_fma_f32 v18, v18, 2.0, -v15
	v_fma_f32 v17, v17, 2.0, -v16
	ds_write2_b32 v29, v18, v17 offset1:24
	ds_write2_b32 v29, v15, v16 offset0:48 offset1:72
	v_mul_lo_u16_e32 v15, 0x60, v7
	v_sub_u16_e32 v23, v0, v15
	v_mul_u32_u24_sdwa v10, v23, v10 dst_sel:DWORD dst_unused:UNUSED_PAD src0_sel:BYTE_0 src1_sel:DWORD
	v_lshlrev_b32_e32 v10, 3, v10
	s_waitcnt lgkmcnt(0)
	s_barrier
	global_load_dwordx4 v[15:18], v10, s[12:13] offset:720
	v_lshrrev_b32_e32 v25, 22, v13
	v_mul_lo_u16_e32 v13, 0x60, v25
	v_sub_u16_e32 v48, v6, v13
	v_mul_lo_u16_e32 v13, 3, v48
	v_lshrrev_b32_e32 v49, 22, v14
	v_lshlrev_b32_e32 v44, 3, v13
	global_load_dwordx4 v[19:22], v44, s[12:13] offset:720
	v_mul_lo_u16_e32 v13, 0x60, v49
	v_sub_u16_e32 v50, v8, v13
	v_mul_lo_u16_e32 v13, 3, v50
	v_lshlrev_b32_e32 v51, 3, v13
	global_load_dwordx4 v[29:32], v51, s[12:13] offset:720
	ds_read_b32 v52, v27
	ds_read2st64_b32 v[13:14], v26 offset0:20 offset1:24
	global_load_dwordx2 v[41:42], v10, s[12:13] offset:736
	ds_read_b32 v10, v28
	ds_read_b32 v53, v1
	ds_read_b32 v54, v26 offset:11264
	v_mul_u32_u24_e32 v7, 0x180, v7
	v_or_b32_sdwa v7, v7, v23 dst_sel:DWORD dst_unused:UNUSED_PAD src0_sel:DWORD src1_sel:BYTE_0
	v_lshl_add_u32 v7, v7, 2, 0
	v_mul_lo_u16_e32 v25, 0x180, v25
	v_or_b32_e32 v25, v25, v48
	v_and_b32_e32 v25, 0xffff, v25
	v_lshl_add_u32 v25, v25, 2, 0
	s_waitcnt vmcnt(3) lgkmcnt(4)
	v_mul_f32_e32 v55, v52, v16
	v_fma_f32 v55, v43, v15, -v55
	v_mul_f32_e32 v56, v43, v16
	s_waitcnt lgkmcnt(3)
	v_mul_f32_e32 v43, v14, v18
	v_fmac_f32_e32 v56, v52, v15
	global_load_dwordx2 v[15:16], v51, s[12:13] offset:736
	v_fma_f32 v51, v36, v17, -v43
	v_mul_f32_e32 v36, v36, v18
	v_fmac_f32_e32 v36, v14, v17
	global_load_dwordx2 v[17:18], v44, s[12:13] offset:736
	ds_read2st64_b32 v[43:44], v26 offset0:28 offset1:32
	s_waitcnt vmcnt(4)
	v_mul_f32_e32 v57, v35, v20
	v_mul_f32_e32 v14, v13, v20
	v_fmac_f32_e32 v57, v13, v19
	v_fma_f32 v52, v35, v19, -v14
	s_waitcnt lgkmcnt(0)
	v_mul_f32_e32 v13, v44, v22
	v_fma_f32 v35, v40, v21, -v13
	ds_read2st64_b32 v[13:14], v26 offset1:16
	v_mul_f32_e32 v22, v40, v22
	s_waitcnt vmcnt(3)
	v_mul_f32_e32 v19, v43, v32
	v_fmac_f32_e32 v22, v44, v21
	v_fma_f32 v21, v39, v31, -v19
	ds_read2st64_b32 v[19:20], v26 offset0:36 offset1:40
	v_mul_f32_e32 v32, v39, v32
	v_fmac_f32_e32 v32, v43, v31
	s_waitcnt lgkmcnt(1)
	v_mul_f32_e32 v31, v14, v30
	v_mul_f32_e32 v30, v34, v30
	v_fma_f32 v31, v34, v29, -v31
	v_fmac_f32_e32 v30, v14, v29
	s_waitcnt vmcnt(2)
	v_mul_f32_e32 v29, v37, v42
	s_waitcnt lgkmcnt(0)
	v_mul_f32_e32 v14, v19, v42
	v_fmac_f32_e32 v29, v19, v41
	v_fma_f32 v14, v37, v41, -v14
	v_sub_f32_e32 v14, v55, v14
	v_sub_f32_e32 v23, v56, v29
	v_fma_f32 v29, v55, 2.0, -v14
	s_waitcnt vmcnt(0)
	s_barrier
	v_sub_f32_e32 v21, v45, v21
	v_mul_f32_e32 v19, v20, v16
	v_mul_f32_e32 v16, v38, v16
	v_fma_f32 v19, v38, v15, -v19
	v_fmac_f32_e32 v16, v20, v15
	v_mul_f32_e32 v15, v54, v18
	v_mul_f32_e32 v18, v47, v18
	v_fma_f32 v15, v47, v17, -v15
	v_fmac_f32_e32 v18, v54, v17
	v_sub_f32_e32 v17, v33, v51
	v_fma_f32 v20, v33, 2.0, -v17
	v_sub_f32_e32 v29, v20, v29
	v_sub_f32_e32 v33, v17, v23
	v_fma_f32 v20, v20, 2.0, -v29
	v_fma_f32 v17, v17, 2.0, -v33
	ds_write2_b32 v7, v20, v17 offset1:96
	v_add_u32_e32 v17, 0x200, v7
	v_mul_lo_u16_e32 v20, 0x180, v49
	v_sub_f32_e32 v19, v31, v19
	ds_write2_b32 v17, v29, v33 offset0:64 offset1:160
	v_or_b32_e32 v20, v20, v50
	v_fma_f32 v29, v45, 2.0, -v21
	v_sub_f32_e32 v16, v30, v16
	v_fma_f32 v31, v31, 2.0, -v19
	v_sub_f32_e32 v31, v29, v31
	v_sub_f32_e32 v33, v21, v16
	v_and_b32_e32 v20, 0xffff, v20
	v_fma_f32 v29, v29, 2.0, -v31
	v_fma_f32 v21, v21, 2.0, -v33
	v_lshl_add_u32 v20, v20, 2, 0
	ds_write2_b32 v20, v29, v21 offset1:96
	v_add_u32_e32 v21, 0x200, v20
	v_sub_f32_e32 v29, v46, v35
	v_sub_f32_e32 v15, v52, v15
	ds_write2_b32 v21, v31, v33 offset0:64 offset1:160
	v_fma_f32 v31, v46, 2.0, -v29
	v_sub_f32_e32 v18, v57, v18
	v_fma_f32 v33, v52, 2.0, -v15
	v_sub_f32_e32 v33, v31, v33
	v_sub_f32_e32 v34, v29, v18
	v_fma_f32 v31, v31, 2.0, -v33
	v_fma_f32 v29, v29, 2.0, -v34
	ds_write2_b32 v25, v31, v29 offset1:96
	v_sub_f32_e32 v31, v13, v36
	v_fma_f32 v13, v13, 2.0, -v31
	v_fma_f32 v23, v56, 2.0, -v23
	v_sub_f32_e32 v23, v13, v23
	v_add_f32_e32 v14, v31, v14
	v_add_u32_e32 v29, 0x200, v25
	v_fma_f32 v13, v13, 2.0, -v23
	v_fma_f32 v31, v31, 2.0, -v14
	ds_write2_b32 v29, v33, v34 offset0:64 offset1:160
	s_waitcnt lgkmcnt(0)
	s_barrier
	ds_read_b32 v49, v1
	ds_read_b32 v50, v28
	;; [unrolled: 1-line block ×3, first 2 shown]
	ds_read_b32 v52, v26 offset:11264
	ds_read2st64_b32 v[33:34], v26 offset1:16
	ds_read2st64_b32 v[35:36], v26 offset0:20 offset1:24
	ds_read2st64_b32 v[37:38], v26 offset0:36 offset1:40
	;; [unrolled: 1-line block ×3, first 2 shown]
	s_waitcnt lgkmcnt(0)
	s_barrier
	ds_write2_b32 v7, v13, v31 offset1:96
	ds_write2_b32 v17, v23, v14 offset0:64 offset1:160
	v_sub_f32_e32 v13, v53, v32
	v_fma_f32 v7, v30, 2.0, -v16
	v_fma_f32 v14, v53, 2.0, -v13
	v_sub_f32_e32 v7, v14, v7
	v_add_f32_e32 v16, v13, v19
	v_fma_f32 v14, v14, 2.0, -v7
	v_fma_f32 v13, v13, 2.0, -v16
	ds_write2_b32 v20, v14, v13 offset1:96
	ds_write2_b32 v21, v7, v16 offset0:64 offset1:160
	v_sub_f32_e32 v7, v10, v22
	v_fma_f32 v10, v10, 2.0, -v7
	v_fma_f32 v13, v57, 2.0, -v18
	v_sub_f32_e32 v13, v10, v13
	v_add_f32_e32 v14, v7, v15
	v_fma_f32 v10, v10, 2.0, -v13
	v_fma_f32 v7, v7, 2.0, -v14
	ds_write2_b32 v25, v10, v7 offset1:96
	ds_write2_b32 v29, v13, v14 offset0:64 offset1:160
	v_mul_u32_u24_e32 v7, 3, v0
	v_lshlrev_b32_e32 v7, 3, v7
	s_waitcnt lgkmcnt(0)
	s_barrier
	global_load_dwordx4 v[15:18], v7, s[12:13] offset:3024
	v_mov_b32_e32 v10, s13
	v_add_co_u32_e64 v23, s[0:1], s12, v7
	v_addc_co_u32_e64 v25, s[0:1], 0, v10, s[0:1]
	v_add_co_u32_e64 v13, s[0:1], s6, v23
	v_addc_co_u32_e64 v14, s[0:1], 0, v25, s[0:1]
	global_load_dwordx4 v[19:22], v[13:14], off offset:2000
	s_movk_i32 s0, 0x180
	v_add_u32_e32 v13, 0xffffff80, v0
	v_cmp_gt_u32_e64 s[0:1], s0, v8
	v_cndmask_b32_e64 v53, v13, v8, s[0:1]
	v_mov_b32_e32 v14, 0
	v_mul_i32_i24_e32 v13, 3, v53
	v_lshlrev_b64 v[29:30], 3, v[13:14]
	v_add_co_u32_e64 v41, s[0:1], s12, v29
	v_addc_co_u32_e64 v42, s[0:1], v10, v30, s[0:1]
	global_load_dwordx4 v[29:32], v[41:42], off offset:3024
	global_load_dwordx2 v[43:44], v7, s[12:13] offset:3040
	global_load_dwordx2 v[45:46], v[41:42], off offset:3040
	s_movk_i32 s0, 0x17d0
	v_add_co_u32_e64 v41, s[0:1], s0, v23
	v_addc_co_u32_e64 v42, s[0:1], 0, v25, s[0:1]
	global_load_dwordx2 v[41:42], v[41:42], off offset:16
	ds_read_b32 v7, v27
	ds_read2st64_b32 v[47:48], v26 offset0:20 offset1:24
	ds_read_b32 v10, v28
	ds_read_b32 v13, v1
	ds_read_b32 v23, v26 offset:11264
	s_movk_i32 s0, 0x17f
	v_cmp_lt_u32_e64 s[0:1], s0, v8
	s_waitcnt vmcnt(5) lgkmcnt(4)
	v_mul_f32_e32 v25, v7, v16
	v_fma_f32 v25, v51, v15, -v25
	v_mul_f32_e32 v51, v51, v16
	v_fmac_f32_e32 v51, v7, v15
	ds_read2st64_b32 v[15:16], v26 offset0:28 offset1:32
	s_waitcnt lgkmcnt(4)
	v_mul_f32_e32 v7, v48, v18
	v_fma_f32 v7, v36, v17, -v7
	v_mul_f32_e32 v36, v36, v18
	v_fmac_f32_e32 v36, v48, v17
	v_sub_f32_e32 v7, v33, v7
	s_waitcnt vmcnt(4)
	v_mul_f32_e32 v17, v47, v20
	v_fma_f32 v48, v35, v19, -v17
	s_waitcnt lgkmcnt(0)
	v_mul_f32_e32 v17, v16, v22
	v_mul_f32_e32 v35, v35, v20
	v_fma_f32 v20, v40, v21, -v17
	v_mul_f32_e32 v40, v40, v22
	v_fmac_f32_e32 v40, v16, v21
	ds_read2st64_b32 v[16:17], v26 offset1:16
	v_fmac_f32_e32 v35, v47, v19
	s_waitcnt vmcnt(3)
	v_mul_f32_e32 v18, v15, v32
	v_fma_f32 v21, v39, v31, -v18
	ds_read2st64_b32 v[18:19], v26 offset0:36 offset1:40
	v_mul_f32_e32 v39, v39, v32
	v_fmac_f32_e32 v39, v15, v31
	s_waitcnt lgkmcnt(1)
	v_mul_f32_e32 v15, v17, v30
	v_fma_f32 v15, v34, v29, -v15
	v_mul_f32_e32 v34, v34, v30
	v_fmac_f32_e32 v34, v17, v29
	s_waitcnt vmcnt(2) lgkmcnt(0)
	v_mul_f32_e32 v17, v18, v44
	v_fma_f32 v17, v37, v43, -v17
	v_mul_f32_e32 v22, v37, v44
	v_fmac_f32_e32 v22, v18, v43
	s_waitcnt vmcnt(1)
	v_mul_f32_e32 v29, v38, v46
	s_waitcnt vmcnt(0)
	v_mul_f32_e32 v30, v52, v42
	v_sub_f32_e32 v17, v25, v17
	v_mul_f32_e32 v18, v19, v46
	v_fmac_f32_e32 v29, v19, v45
	v_mul_f32_e32 v19, v23, v42
	v_fmac_f32_e32 v30, v23, v41
	v_fma_f32 v23, v33, 2.0, -v7
	v_sub_f32_e32 v22, v51, v22
	v_fma_f32 v25, v25, 2.0, -v17
	v_fma_f32 v18, v38, v45, -v18
	v_sub_f32_e32 v25, v23, v25
	v_sub_f32_e32 v31, v7, v22
	v_fma_f32 v23, v23, 2.0, -v25
	v_fma_f32 v7, v7, 2.0, -v31
	v_sub_f32_e32 v21, v49, v21
	v_sub_f32_e32 v33, v15, v18
	s_barrier
	ds_write2st64_b32 v26, v23, v7 offset1:6
	ds_write2st64_b32 v26, v25, v31 offset0:12 offset1:18
	v_mov_b32_e32 v7, 0x600
	v_fma_f32 v23, v49, 2.0, -v21
	v_fma_f32 v15, v15, 2.0, -v33
	v_cndmask_b32_e64 v7, 0, v7, s[0:1]
	v_sub_f32_e32 v37, v34, v29
	v_sub_f32_e32 v15, v23, v15
	v_or_b32_e32 v7, v7, v53
	v_fma_f32 v18, v23, 2.0, -v15
	v_sub_f32_e32 v23, v21, v37
	v_fma_f32 v19, v52, v41, -v19
	v_fma_f32 v21, v21, 2.0, -v23
	v_lshl_add_u32 v7, v7, 2, 0
	ds_write2st64_b32 v7, v18, v21 offset1:6
	ds_write2st64_b32 v7, v15, v23 offset0:12 offset1:18
	v_sub_f32_e32 v15, v50, v20
	v_sub_f32_e32 v38, v48, v19
	v_fma_f32 v18, v50, 2.0, -v15
	v_fma_f32 v19, v48, 2.0, -v38
	v_sub_f32_e32 v19, v18, v19
	v_fma_f32 v18, v18, 2.0, -v19
	v_sub_f32_e32 v41, v35, v30
	ds_write_b32 v26, v18 offset:6656
	v_sub_f32_e32 v18, v15, v41
	v_fma_f32 v15, v15, 2.0, -v18
	v_lshl_add_u32 v42, v0, 2, 0
	ds_write2st64_b32 v42, v15, v19 offset0:32 offset1:38
	v_sub_f32_e32 v15, v16, v36
	v_fma_f32 v16, v16, 2.0, -v15
	v_fma_f32 v19, v51, 2.0, -v22
	v_sub_f32_e32 v36, v16, v19
	v_add_f32_e32 v44, v15, v17
	v_fma_f32 v43, v16, 2.0, -v36
	v_fma_f32 v45, v15, 2.0, -v44
	ds_write_b32 v42, v18 offset:11264
	s_waitcnt lgkmcnt(0)
	s_barrier
	v_lshl_add_u32 v30, v9, 2, 0
	v_lshl_add_u32 v32, v12, 2, 0
	ds_read_b32 v21, v1
	ds_read_b32 v29, v32
	;; [unrolled: 1-line block ×5, first 2 shown]
	ds_read_b32 v31, v26 offset:11264
	ds_read2st64_b32 v[15:16], v26 offset1:24
	ds_read2st64_b32 v[17:18], v26 offset0:28 offset1:32
	ds_read2st64_b32 v[19:20], v26 offset0:36 offset1:40
	v_fma_f32 v1, v34, 2.0, -v37
	v_sub_f32_e32 v34, v13, v39
	v_fma_f32 v13, v13, 2.0, -v34
	v_sub_f32_e32 v1, v13, v1
	v_add_f32_e32 v33, v34, v33
	v_fma_f32 v13, v13, 2.0, -v1
	v_fma_f32 v34, v34, 2.0, -v33
	s_waitcnt lgkmcnt(0)
	s_barrier
	ds_write2st64_b32 v26, v43, v45 offset1:6
	ds_write2st64_b32 v26, v36, v44 offset0:12 offset1:18
	ds_write2st64_b32 v7, v13, v34 offset1:6
	ds_write2st64_b32 v7, v1, v33 offset0:12 offset1:18
	v_sub_f32_e32 v7, v10, v40
	v_fma_f32 v1, v35, 2.0, -v41
	v_fma_f32 v10, v10, 2.0, -v7
	v_sub_f32_e32 v1, v10, v1
	v_fma_f32 v10, v10, 2.0, -v1
	ds_write_b32 v26, v10 offset:6656
	v_add_f32_e32 v10, v7, v38
	v_fma_f32 v7, v7, 2.0, -v10
	ds_write2st64_b32 v42, v7, v1 offset0:32 offset1:38
	ds_write_b32 v42, v10 offset:11264
	s_waitcnt lgkmcnt(0)
	s_barrier
	s_and_saveexec_b64 s[0:1], vcc
	s_cbranch_execz .LBB0_15
; %bb.14:
	v_mov_b32_e32 v13, v14
	v_lshlrev_b64 v[12:13], 3, v[12:13]
	v_mov_b32_e32 v39, s13
	v_add_co_u32_e32 v1, vcc, s12, v12
	v_addc_co_u32_e32 v7, vcc, v39, v13, vcc
	v_mov_b32_e32 v10, v14
	v_add_co_u32_e32 v12, vcc, 0x2000, v1
	v_lshlrev_b64 v[9:10], 3, v[9:10]
	v_addc_co_u32_e32 v13, vcc, 0, v7, vcc
	v_add_co_u32_e32 v1, vcc, s12, v9
	s_movk_i32 s0, 0x2000
	v_addc_co_u32_e32 v7, vcc, v39, v10, vcc
	v_add_co_u32_e32 v9, vcc, s0, v1
	v_addc_co_u32_e32 v10, vcc, 0, v7, vcc
	global_load_dwordx2 v[33:34], v[12:13], off offset:4048
	global_load_dwordx2 v[35:36], v[9:10], off offset:4048
	v_mov_b32_e32 v12, v14
	v_lshlrev_b64 v[9:10], 3, v[11:12]
	v_add_co_u32_e32 v1, vcc, s12, v9
	v_addc_co_u32_e32 v7, vcc, v39, v10, vcc
	v_add_co_u32_e32 v9, vcc, s0, v1
	v_addc_co_u32_e32 v10, vcc, 0, v7, vcc
	v_mov_b32_e32 v7, v14
	v_lshlrev_b64 v[6:7], 3, v[6:7]
	global_load_dwordx2 v[10:11], v[9:10], off offset:4048
	v_add_co_u32_e32 v1, vcc, s12, v6
	v_addc_co_u32_e32 v7, vcc, v39, v7, vcc
	v_add_co_u32_e32 v6, vcc, s0, v1
	v_addc_co_u32_e32 v7, vcc, 0, v7, vcc
	global_load_dwordx2 v[6:7], v[6:7], off offset:4048
	v_mov_b32_e32 v9, v14
	v_lshlrev_b64 v[12:13], 3, v[8:9]
	v_add_co_u32_e32 v1, vcc, s12, v12
	v_addc_co_u32_e32 v9, vcc, v39, v13, vcc
	v_add_co_u32_e32 v12, vcc, s0, v1
	v_addc_co_u32_e32 v13, vcc, 0, v9, vcc
	global_load_dwordx2 v[12:13], v[12:13], off offset:4048
	v_mov_b32_e32 v1, v14
	v_lshlrev_b64 v[37:38], 3, v[0:1]
	v_mul_lo_u32 v14, s5, v4
	v_add_co_u32_e32 v1, vcc, s12, v37
	v_addc_co_u32_e32 v9, vcc, v39, v38, vcc
	v_add_co_u32_e32 v37, vcc, s0, v1
	v_addc_co_u32_e32 v38, vcc, 0, v9, vcc
	global_load_dwordx2 v[37:38], v[37:38], off offset:4048
	v_mul_lo_u32 v39, s4, v5
	v_mad_u64_u32 v[4:5], s[0:1], s4, v4, 0
	v_mul_i32_i24_e32 v1, 0xffffffec, v8
	ds_read2st64_b32 v[8:9], v26 offset0:36 offset1:40
	ds_read_b32 v40, v26 offset:11264
	ds_read_b32 v41, v27
	ds_read_b32 v32, v32
	;; [unrolled: 1-line block ×4, first 2 shown]
	v_add3_u32 v5, v5, v39, v14
	v_add_u32_e32 v1, v24, v1
	ds_read_b32 v1, v1
	s_mov_b32 s0, 0xaaaaaaab
	v_lshlrev_b64 v[4:5], 3, v[4:5]
	s_movk_i32 s1, 0xc00
	v_add_co_u32_e32 v4, vcc, s10, v4
	s_waitcnt vmcnt(5) lgkmcnt(5)
	v_mul_f32_e32 v14, v33, v40
	s_waitcnt vmcnt(4)
	v_mul_f32_e32 v39, v35, v9
	v_mul_f32_e32 v9, v36, v9
	v_fmac_f32_e32 v39, v20, v36
	v_fma_f32 v9, v20, v35, -v9
	ds_read2st64_b32 v[35:36], v26 offset0:28 offset1:32
	v_mul_f32_e32 v27, v34, v40
	v_fmac_f32_e32 v14, v31, v34
	v_fma_f32 v27, v31, v33, -v27
	v_sub_f32_e32 v31, v25, v9
	s_waitcnt lgkmcnt(4)
	v_sub_f32_e32 v28, v32, v14
	v_fma_f32 v33, v25, 2.0, -v31
	v_fma_f32 v30, v32, 2.0, -v28
	s_waitcnt lgkmcnt(3)
	v_sub_f32_e32 v32, v42, v39
	v_fma_f32 v34, v42, 2.0, -v32
	s_waitcnt vmcnt(3)
	v_mul_f32_e32 v9, v10, v8
	v_mul_f32_e32 v8, v11, v8
	v_fma_f32 v8, v19, v10, -v8
	v_fmac_f32_e32 v9, v19, v11
	v_sub_f32_e32 v8, v23, v8
	v_fma_f32 v19, v23, 2.0, -v8
	v_sub_f32_e32 v9, v41, v9
	v_fma_f32 v20, v41, 2.0, -v9
	v_sub_f32_e32 v27, v29, v27
	s_waitcnt vmcnt(2) lgkmcnt(0)
	v_mul_f32_e32 v10, v6, v36
	v_fmac_f32_e32 v10, v18, v7
	v_mul_f32_e32 v7, v7, v36
	v_fma_f32 v6, v18, v6, -v7
	v_sub_f32_e32 v11, v43, v10
	v_sub_f32_e32 v10, v22, v6
	v_fma_f32 v23, v43, 2.0, -v11
	v_fma_f32 v22, v22, 2.0, -v10
	;; [unrolled: 1-line block ×3, first 2 shown]
	s_waitcnt vmcnt(1)
	v_mul_f32_e32 v6, v12, v35
	v_fmac_f32_e32 v6, v17, v13
	v_sub_f32_e32 v7, v1, v6
	v_fma_f32 v14, v1, 2.0, -v7
	v_mul_f32_e32 v1, v13, v35
	v_fma_f32 v1, v17, v12, -v1
	v_sub_f32_e32 v6, v21, v1
	v_mul_hi_u32 v1, v0, s0
	ds_read2st64_b32 v[17:18], v26 offset1:24
	v_fma_f32 v13, v21, 2.0, -v6
	v_lshrrev_b32_e32 v1, 10, v1
	v_mul_u32_u24_e32 v1, 0x600, v1
	v_sub_u32_e32 v21, v0, v1
	v_mad_u64_u32 v[24:25], s[4:5], s2, v21, 0
	s_waitcnt vmcnt(0) lgkmcnt(0)
	v_mul_f32_e32 v12, v37, v18
	v_fmac_f32_e32 v12, v16, v38
	v_sub_f32_e32 v36, v17, v12
	v_mul_f32_e32 v12, v38, v18
	v_mov_b32_e32 v1, v25
	v_mad_u64_u32 v[25:26], s[4:5], s3, v21, v[1:2]
	v_fma_f32 v1, v16, v37, -v12
	v_sub_f32_e32 v35, v15, v1
	v_mov_b32_e32 v1, s11
	v_addc_co_u32_e32 v5, vcc, v1, v5, vcc
	v_lshlrev_b64 v[1:2], 3, v[2:3]
	v_fma_f32 v16, v15, 2.0, -v35
	v_add_co_u32_e32 v12, vcc, v4, v1
	v_addc_co_u32_e32 v18, vcc, v5, v2, vcc
	v_add_u32_e32 v5, 0x600, v21
	v_mad_u64_u32 v[3:4], s[4:5], s2, v5, 0
	v_add_u32_e32 v15, 0x100, v0
	v_mul_hi_u32 v21, v15, s0
	v_mad_u64_u32 v[4:5], s[4:5], s3, v5, v[4:5]
	v_lshlrev_b64 v[1:2], 3, v[24:25]
	v_lshrrev_b32_e32 v5, 10, v21
	v_mul_u32_u24_e32 v21, 0x600, v5
	v_sub_u32_e32 v15, v15, v21
	v_mad_u32_u24 v5, v5, s1, v15
	v_mad_u64_u32 v[24:25], s[4:5], s2, v5, 0
	v_add_co_u32_e32 v1, vcc, v12, v1
	v_fma_f32 v17, v17, 2.0, -v36
	v_addc_co_u32_e32 v2, vcc, v18, v2, vcc
	global_store_dwordx2 v[1:2], v[16:17], off
	v_lshlrev_b64 v[1:2], 3, v[3:4]
	v_mov_b32_e32 v3, v25
	v_mad_u64_u32 v[3:4], s[4:5], s3, v5, v[3:4]
	v_add_u32_e32 v5, 0x600, v5
	v_add_u32_e32 v15, 0x200, v0
	v_mov_b32_e32 v25, v3
	v_mad_u64_u32 v[3:4], s[4:5], s2, v5, 0
	v_mul_hi_u32 v16, v15, s0
	v_add_co_u32_e32 v1, vcc, v12, v1
	v_mad_u64_u32 v[4:5], s[4:5], s3, v5, v[4:5]
	v_lshrrev_b32_e32 v5, 10, v16
	v_mul_u32_u24_e32 v16, 0x600, v5
	v_sub_u32_e32 v15, v15, v16
	v_addc_co_u32_e32 v2, vcc, v18, v2, vcc
	v_mad_u32_u24 v5, v5, s1, v15
	global_store_dwordx2 v[1:2], v[35:36], off
	v_lshlrev_b64 v[1:2], 3, v[24:25]
	v_mad_u64_u32 v[15:16], s[4:5], s2, v5, 0
	v_add_co_u32_e32 v1, vcc, v12, v1
	v_addc_co_u32_e32 v2, vcc, v18, v2, vcc
	global_store_dwordx2 v[1:2], v[13:14], off
	v_lshlrev_b64 v[1:2], 3, v[3:4]
	v_mov_b32_e32 v3, v16
	v_mad_u64_u32 v[3:4], s[4:5], s3, v5, v[3:4]
	v_add_co_u32_e32 v1, vcc, v12, v1
	v_addc_co_u32_e32 v2, vcc, v18, v2, vcc
	v_add_u32_e32 v5, 0x600, v5
	global_store_dwordx2 v[1:2], v[6:7], off
	v_mov_b32_e32 v16, v3
	v_mad_u64_u32 v[3:4], s[4:5], s2, v5, 0
	v_add_u32_e32 v6, 0x300, v0
	v_mul_hi_u32 v7, v6, s0
	v_mad_u64_u32 v[4:5], s[4:5], s3, v5, v[4:5]
	v_lshlrev_b64 v[1:2], 3, v[15:16]
	v_lshrrev_b32_e32 v5, 10, v7
	v_mul_u32_u24_e32 v7, 0x600, v5
	v_sub_u32_e32 v6, v6, v7
	v_mad_u32_u24 v7, v5, s1, v6
	v_mad_u64_u32 v[5:6], s[4:5], s2, v7, 0
	v_add_co_u32_e32 v1, vcc, v12, v1
	v_addc_co_u32_e32 v2, vcc, v18, v2, vcc
	global_store_dwordx2 v[1:2], v[22:23], off
	v_lshlrev_b64 v[1:2], 3, v[3:4]
	v_mov_b32_e32 v3, v6
	v_mad_u64_u32 v[3:4], s[4:5], s3, v7, v[3:4]
	v_add_co_u32_e32 v1, vcc, v12, v1
	v_addc_co_u32_e32 v2, vcc, v18, v2, vcc
	v_mov_b32_e32 v6, v3
	global_store_dwordx2 v[1:2], v[10:11], off
	v_lshlrev_b64 v[1:2], 3, v[5:6]
	v_add_u32_e32 v5, 0x600, v7
	v_mad_u64_u32 v[3:4], s[4:5], s2, v5, 0
	v_add_u32_e32 v6, 0x400, v0
	v_mul_hi_u32 v7, v6, s0
	v_mad_u64_u32 v[4:5], s[4:5], s3, v5, v[4:5]
	v_add_co_u32_e32 v1, vcc, v12, v1
	v_lshrrev_b32_e32 v5, 10, v7
	v_mul_u32_u24_e32 v7, 0x600, v5
	v_sub_u32_e32 v6, v6, v7
	v_mad_u32_u24 v7, v5, s1, v6
	v_mad_u64_u32 v[5:6], s[4:5], s2, v7, 0
	v_addc_co_u32_e32 v2, vcc, v18, v2, vcc
	global_store_dwordx2 v[1:2], v[19:20], off
	v_lshlrev_b64 v[1:2], 3, v[3:4]
	v_mov_b32_e32 v3, v6
	v_mad_u64_u32 v[3:4], s[4:5], s3, v7, v[3:4]
	v_add_co_u32_e32 v1, vcc, v12, v1
	v_addc_co_u32_e32 v2, vcc, v18, v2, vcc
	v_mov_b32_e32 v6, v3
	global_store_dwordx2 v[1:2], v[8:9], off
	v_lshlrev_b64 v[1:2], 3, v[5:6]
	v_add_u32_e32 v5, 0x600, v7
	v_mad_u64_u32 v[3:4], s[4:5], s2, v5, 0
	v_add_co_u32_e32 v1, vcc, v12, v1
	v_mad_u64_u32 v[4:5], s[4:5], s3, v5, v[4:5]
	v_add_u32_e32 v5, 0x500, v0
	v_mul_hi_u32 v6, v5, s0
	v_addc_co_u32_e32 v2, vcc, v18, v2, vcc
	global_store_dwordx2 v[1:2], v[33:34], off
	v_lshrrev_b32_e32 v2, 10, v6
	v_lshlrev_b64 v[0:1], 3, v[3:4]
	v_mul_u32_u24_e32 v3, 0x600, v2
	v_sub_u32_e32 v3, v5, v3
	v_mad_u32_u24 v5, v2, s1, v3
	v_mad_u64_u32 v[2:3], s[0:1], s2, v5, 0
	v_add_u32_e32 v6, 0x600, v5
	v_add_co_u32_e32 v0, vcc, v12, v0
	v_mad_u64_u32 v[3:4], s[0:1], s3, v5, v[3:4]
	v_mad_u64_u32 v[4:5], s[0:1], s2, v6, 0
	v_addc_co_u32_e32 v1, vcc, v18, v1, vcc
	global_store_dwordx2 v[0:1], v[31:32], off
	v_lshlrev_b64 v[0:1], 3, v[2:3]
	v_mov_b32_e32 v2, v5
	v_mad_u64_u32 v[2:3], s[0:1], s3, v6, v[2:3]
	v_add_co_u32_e32 v0, vcc, v12, v0
	v_addc_co_u32_e32 v1, vcc, v18, v1, vcc
	v_mov_b32_e32 v5, v2
	global_store_dwordx2 v[0:1], v[29:30], off
	v_lshlrev_b64 v[0:1], 3, v[4:5]
	v_add_co_u32_e32 v0, vcc, v12, v0
	v_addc_co_u32_e32 v1, vcc, v18, v1, vcc
	global_store_dwordx2 v[0:1], v[27:28], off
.LBB0_15:
	s_endpgm
	.section	.rodata,"a",@progbits
	.p2align	6, 0x0
	.amdhsa_kernel fft_rtc_fwd_len3072_factors_6_4_4_4_4_2_wgs_256_tpt_256_halfLds_sp_op_CI_CI_sbrr_dirReg
		.amdhsa_group_segment_fixed_size 0
		.amdhsa_private_segment_fixed_size 0
		.amdhsa_kernarg_size 104
		.amdhsa_user_sgpr_count 6
		.amdhsa_user_sgpr_private_segment_buffer 1
		.amdhsa_user_sgpr_dispatch_ptr 0
		.amdhsa_user_sgpr_queue_ptr 0
		.amdhsa_user_sgpr_kernarg_segment_ptr 1
		.amdhsa_user_sgpr_dispatch_id 0
		.amdhsa_user_sgpr_flat_scratch_init 0
		.amdhsa_user_sgpr_private_segment_size 0
		.amdhsa_uses_dynamic_stack 0
		.amdhsa_system_sgpr_private_segment_wavefront_offset 0
		.amdhsa_system_sgpr_workgroup_id_x 1
		.amdhsa_system_sgpr_workgroup_id_y 0
		.amdhsa_system_sgpr_workgroup_id_z 0
		.amdhsa_system_sgpr_workgroup_info 0
		.amdhsa_system_vgpr_workitem_id 0
		.amdhsa_next_free_vgpr 62
		.amdhsa_next_free_sgpr 32
		.amdhsa_reserve_vcc 1
		.amdhsa_reserve_flat_scratch 0
		.amdhsa_float_round_mode_32 0
		.amdhsa_float_round_mode_16_64 0
		.amdhsa_float_denorm_mode_32 3
		.amdhsa_float_denorm_mode_16_64 3
		.amdhsa_dx10_clamp 1
		.amdhsa_ieee_mode 1
		.amdhsa_fp16_overflow 0
		.amdhsa_exception_fp_ieee_invalid_op 0
		.amdhsa_exception_fp_denorm_src 0
		.amdhsa_exception_fp_ieee_div_zero 0
		.amdhsa_exception_fp_ieee_overflow 0
		.amdhsa_exception_fp_ieee_underflow 0
		.amdhsa_exception_fp_ieee_inexact 0
		.amdhsa_exception_int_div_zero 0
	.end_amdhsa_kernel
	.text
.Lfunc_end0:
	.size	fft_rtc_fwd_len3072_factors_6_4_4_4_4_2_wgs_256_tpt_256_halfLds_sp_op_CI_CI_sbrr_dirReg, .Lfunc_end0-fft_rtc_fwd_len3072_factors_6_4_4_4_4_2_wgs_256_tpt_256_halfLds_sp_op_CI_CI_sbrr_dirReg
                                        ; -- End function
	.section	.AMDGPU.csdata,"",@progbits
; Kernel info:
; codeLenInByte = 8196
; NumSgprs: 36
; NumVgprs: 62
; ScratchSize: 0
; MemoryBound: 0
; FloatMode: 240
; IeeeMode: 1
; LDSByteSize: 0 bytes/workgroup (compile time only)
; SGPRBlocks: 4
; VGPRBlocks: 15
; NumSGPRsForWavesPerEU: 36
; NumVGPRsForWavesPerEU: 62
; Occupancy: 4
; WaveLimiterHint : 1
; COMPUTE_PGM_RSRC2:SCRATCH_EN: 0
; COMPUTE_PGM_RSRC2:USER_SGPR: 6
; COMPUTE_PGM_RSRC2:TRAP_HANDLER: 0
; COMPUTE_PGM_RSRC2:TGID_X_EN: 1
; COMPUTE_PGM_RSRC2:TGID_Y_EN: 0
; COMPUTE_PGM_RSRC2:TGID_Z_EN: 0
; COMPUTE_PGM_RSRC2:TIDIG_COMP_CNT: 0
	.type	__hip_cuid_cb33a2b3f5891396,@object ; @__hip_cuid_cb33a2b3f5891396
	.section	.bss,"aw",@nobits
	.globl	__hip_cuid_cb33a2b3f5891396
__hip_cuid_cb33a2b3f5891396:
	.byte	0                               ; 0x0
	.size	__hip_cuid_cb33a2b3f5891396, 1

	.ident	"AMD clang version 19.0.0git (https://github.com/RadeonOpenCompute/llvm-project roc-6.4.0 25133 c7fe45cf4b819c5991fe208aaa96edf142730f1d)"
	.section	".note.GNU-stack","",@progbits
	.addrsig
	.addrsig_sym __hip_cuid_cb33a2b3f5891396
	.amdgpu_metadata
---
amdhsa.kernels:
  - .args:
      - .actual_access:  read_only
        .address_space:  global
        .offset:         0
        .size:           8
        .value_kind:     global_buffer
      - .offset:         8
        .size:           8
        .value_kind:     by_value
      - .actual_access:  read_only
        .address_space:  global
        .offset:         16
        .size:           8
        .value_kind:     global_buffer
      - .actual_access:  read_only
        .address_space:  global
        .offset:         24
        .size:           8
        .value_kind:     global_buffer
      - .actual_access:  read_only
        .address_space:  global
        .offset:         32
        .size:           8
        .value_kind:     global_buffer
      - .offset:         40
        .size:           8
        .value_kind:     by_value
      - .actual_access:  read_only
        .address_space:  global
        .offset:         48
        .size:           8
        .value_kind:     global_buffer
      - .actual_access:  read_only
        .address_space:  global
        .offset:         56
        .size:           8
        .value_kind:     global_buffer
      - .offset:         64
        .size:           4
        .value_kind:     by_value
      - .actual_access:  read_only
        .address_space:  global
        .offset:         72
        .size:           8
        .value_kind:     global_buffer
      - .actual_access:  read_only
        .address_space:  global
        .offset:         80
        .size:           8
        .value_kind:     global_buffer
      - .actual_access:  read_only
        .address_space:  global
        .offset:         88
        .size:           8
        .value_kind:     global_buffer
      - .actual_access:  write_only
        .address_space:  global
        .offset:         96
        .size:           8
        .value_kind:     global_buffer
    .group_segment_fixed_size: 0
    .kernarg_segment_align: 8
    .kernarg_segment_size: 104
    .language:       OpenCL C
    .language_version:
      - 2
      - 0
    .max_flat_workgroup_size: 256
    .name:           fft_rtc_fwd_len3072_factors_6_4_4_4_4_2_wgs_256_tpt_256_halfLds_sp_op_CI_CI_sbrr_dirReg
    .private_segment_fixed_size: 0
    .sgpr_count:     36
    .sgpr_spill_count: 0
    .symbol:         fft_rtc_fwd_len3072_factors_6_4_4_4_4_2_wgs_256_tpt_256_halfLds_sp_op_CI_CI_sbrr_dirReg.kd
    .uniform_work_group_size: 1
    .uses_dynamic_stack: false
    .vgpr_count:     62
    .vgpr_spill_count: 0
    .wavefront_size: 64
amdhsa.target:   amdgcn-amd-amdhsa--gfx906
amdhsa.version:
  - 1
  - 2
...

	.end_amdgpu_metadata
